;; amdgpu-corpus repo=ROCm/rocFFT kind=compiled arch=gfx906 opt=O3
	.text
	.amdgcn_target "amdgcn-amd-amdhsa--gfx906"
	.amdhsa_code_object_version 6
	.protected	fft_rtc_back_len416_factors_13_2_16_wgs_64_tpt_32_dp_ip_CI_unitstride_sbrr_R2C_dirReg ; -- Begin function fft_rtc_back_len416_factors_13_2_16_wgs_64_tpt_32_dp_ip_CI_unitstride_sbrr_R2C_dirReg
	.globl	fft_rtc_back_len416_factors_13_2_16_wgs_64_tpt_32_dp_ip_CI_unitstride_sbrr_R2C_dirReg
	.p2align	8
	.type	fft_rtc_back_len416_factors_13_2_16_wgs_64_tpt_32_dp_ip_CI_unitstride_sbrr_R2C_dirReg,@function
fft_rtc_back_len416_factors_13_2_16_wgs_64_tpt_32_dp_ip_CI_unitstride_sbrr_R2C_dirReg: ; @fft_rtc_back_len416_factors_13_2_16_wgs_64_tpt_32_dp_ip_CI_unitstride_sbrr_R2C_dirReg
; %bb.0:
	s_load_dwordx2 s[12:13], s[4:5], 0x50
	s_load_dwordx4 s[8:11], s[4:5], 0x0
	s_load_dwordx2 s[2:3], s[4:5], 0x18
	v_lshrrev_b32_e32 v1, 5, v0
	v_lshl_or_b32 v5, s6, 1, v1
	v_mov_b32_e32 v3, 0
	s_waitcnt lgkmcnt(0)
	v_cmp_lt_u64_e64 s[0:1], s[10:11], 2
	v_mov_b32_e32 v1, 0
	v_mov_b32_e32 v6, v3
	s_and_b64 vcc, exec, s[0:1]
	v_mov_b32_e32 v2, 0
	s_cbranch_vccnz .LBB0_8
; %bb.1:
	s_load_dwordx2 s[0:1], s[4:5], 0x10
	s_add_u32 s6, s2, 8
	s_addc_u32 s7, s3, 0
	v_mov_b32_e32 v1, 0
	v_mov_b32_e32 v2, 0
	s_waitcnt lgkmcnt(0)
	s_add_u32 s14, s0, 8
	s_addc_u32 s15, s1, 0
	s_mov_b64 s[16:17], 1
.LBB0_2:                                ; =>This Inner Loop Header: Depth=1
	s_load_dwordx2 s[18:19], s[14:15], 0x0
                                        ; implicit-def: $vgpr7_vgpr8
	s_waitcnt lgkmcnt(0)
	v_or_b32_e32 v4, s19, v6
	v_cmp_ne_u64_e32 vcc, 0, v[3:4]
	s_and_saveexec_b64 s[0:1], vcc
	s_xor_b64 s[20:21], exec, s[0:1]
	s_cbranch_execz .LBB0_4
; %bb.3:                                ;   in Loop: Header=BB0_2 Depth=1
	v_cvt_f32_u32_e32 v4, s18
	v_cvt_f32_u32_e32 v7, s19
	s_sub_u32 s0, 0, s18
	s_subb_u32 s1, 0, s19
	v_mac_f32_e32 v4, 0x4f800000, v7
	v_rcp_f32_e32 v4, v4
	v_mul_f32_e32 v4, 0x5f7ffffc, v4
	v_mul_f32_e32 v7, 0x2f800000, v4
	v_trunc_f32_e32 v7, v7
	v_mac_f32_e32 v4, 0xcf800000, v7
	v_cvt_u32_f32_e32 v7, v7
	v_cvt_u32_f32_e32 v4, v4
	v_mul_lo_u32 v8, s0, v7
	v_mul_hi_u32 v9, s0, v4
	v_mul_lo_u32 v11, s1, v4
	v_mul_lo_u32 v10, s0, v4
	v_add_u32_e32 v8, v9, v8
	v_add_u32_e32 v8, v8, v11
	v_mul_hi_u32 v9, v4, v10
	v_mul_lo_u32 v11, v4, v8
	v_mul_hi_u32 v13, v4, v8
	v_mul_hi_u32 v12, v7, v10
	v_mul_lo_u32 v10, v7, v10
	v_mul_hi_u32 v14, v7, v8
	v_add_co_u32_e32 v9, vcc, v9, v11
	v_addc_co_u32_e32 v11, vcc, 0, v13, vcc
	v_mul_lo_u32 v8, v7, v8
	v_add_co_u32_e32 v9, vcc, v9, v10
	v_addc_co_u32_e32 v9, vcc, v11, v12, vcc
	v_addc_co_u32_e32 v10, vcc, 0, v14, vcc
	v_add_co_u32_e32 v8, vcc, v9, v8
	v_addc_co_u32_e32 v9, vcc, 0, v10, vcc
	v_add_co_u32_e32 v4, vcc, v4, v8
	v_addc_co_u32_e32 v7, vcc, v7, v9, vcc
	v_mul_lo_u32 v8, s0, v7
	v_mul_hi_u32 v9, s0, v4
	v_mul_lo_u32 v10, s1, v4
	v_mul_lo_u32 v11, s0, v4
	v_add_u32_e32 v8, v9, v8
	v_add_u32_e32 v8, v8, v10
	v_mul_lo_u32 v12, v4, v8
	v_mul_hi_u32 v13, v4, v11
	v_mul_hi_u32 v14, v4, v8
	;; [unrolled: 1-line block ×3, first 2 shown]
	v_mul_lo_u32 v11, v7, v11
	v_mul_hi_u32 v9, v7, v8
	v_add_co_u32_e32 v12, vcc, v13, v12
	v_addc_co_u32_e32 v13, vcc, 0, v14, vcc
	v_mul_lo_u32 v8, v7, v8
	v_add_co_u32_e32 v11, vcc, v12, v11
	v_addc_co_u32_e32 v10, vcc, v13, v10, vcc
	v_addc_co_u32_e32 v9, vcc, 0, v9, vcc
	v_add_co_u32_e32 v8, vcc, v10, v8
	v_addc_co_u32_e32 v9, vcc, 0, v9, vcc
	v_add_co_u32_e32 v4, vcc, v4, v8
	v_addc_co_u32_e32 v9, vcc, v7, v9, vcc
	v_mad_u64_u32 v[7:8], s[0:1], v5, v9, 0
	v_mul_hi_u32 v10, v5, v4
	v_add_co_u32_e32 v11, vcc, v10, v7
	v_addc_co_u32_e32 v12, vcc, 0, v8, vcc
	v_mad_u64_u32 v[7:8], s[0:1], v6, v4, 0
	v_mad_u64_u32 v[9:10], s[0:1], v6, v9, 0
	v_add_co_u32_e32 v4, vcc, v11, v7
	v_addc_co_u32_e32 v4, vcc, v12, v8, vcc
	v_addc_co_u32_e32 v7, vcc, 0, v10, vcc
	v_add_co_u32_e32 v4, vcc, v4, v9
	v_addc_co_u32_e32 v9, vcc, 0, v7, vcc
	v_mul_lo_u32 v10, s19, v4
	v_mul_lo_u32 v11, s18, v9
	v_mad_u64_u32 v[7:8], s[0:1], s18, v4, 0
	v_add3_u32 v8, v8, v11, v10
	v_sub_u32_e32 v10, v6, v8
	v_mov_b32_e32 v11, s19
	v_sub_co_u32_e32 v7, vcc, v5, v7
	v_subb_co_u32_e64 v10, s[0:1], v10, v11, vcc
	v_subrev_co_u32_e64 v11, s[0:1], s18, v7
	v_subbrev_co_u32_e64 v10, s[0:1], 0, v10, s[0:1]
	v_cmp_le_u32_e64 s[0:1], s19, v10
	v_cndmask_b32_e64 v12, 0, -1, s[0:1]
	v_cmp_le_u32_e64 s[0:1], s18, v11
	v_cndmask_b32_e64 v11, 0, -1, s[0:1]
	v_cmp_eq_u32_e64 s[0:1], s19, v10
	v_cndmask_b32_e64 v10, v12, v11, s[0:1]
	v_add_co_u32_e64 v11, s[0:1], 2, v4
	v_addc_co_u32_e64 v12, s[0:1], 0, v9, s[0:1]
	v_add_co_u32_e64 v13, s[0:1], 1, v4
	v_addc_co_u32_e64 v14, s[0:1], 0, v9, s[0:1]
	v_subb_co_u32_e32 v8, vcc, v6, v8, vcc
	v_cmp_ne_u32_e64 s[0:1], 0, v10
	v_cmp_le_u32_e32 vcc, s19, v8
	v_cndmask_b32_e64 v10, v14, v12, s[0:1]
	v_cndmask_b32_e64 v12, 0, -1, vcc
	v_cmp_le_u32_e32 vcc, s18, v7
	v_cndmask_b32_e64 v7, 0, -1, vcc
	v_cmp_eq_u32_e32 vcc, s19, v8
	v_cndmask_b32_e32 v7, v12, v7, vcc
	v_cmp_ne_u32_e32 vcc, 0, v7
	v_cndmask_b32_e64 v7, v13, v11, s[0:1]
	v_cndmask_b32_e32 v8, v9, v10, vcc
	v_cndmask_b32_e32 v7, v4, v7, vcc
.LBB0_4:                                ;   in Loop: Header=BB0_2 Depth=1
	s_andn2_saveexec_b64 s[0:1], s[20:21]
	s_cbranch_execz .LBB0_6
; %bb.5:                                ;   in Loop: Header=BB0_2 Depth=1
	v_cvt_f32_u32_e32 v4, s18
	s_sub_i32 s20, 0, s18
	v_rcp_iflag_f32_e32 v4, v4
	v_mul_f32_e32 v4, 0x4f7ffffe, v4
	v_cvt_u32_f32_e32 v4, v4
	v_mul_lo_u32 v7, s20, v4
	v_mul_hi_u32 v7, v4, v7
	v_add_u32_e32 v4, v4, v7
	v_mul_hi_u32 v4, v5, v4
	v_mul_lo_u32 v7, v4, s18
	v_add_u32_e32 v8, 1, v4
	v_sub_u32_e32 v7, v5, v7
	v_subrev_u32_e32 v9, s18, v7
	v_cmp_le_u32_e32 vcc, s18, v7
	v_cndmask_b32_e32 v7, v7, v9, vcc
	v_cndmask_b32_e32 v4, v4, v8, vcc
	v_add_u32_e32 v8, 1, v4
	v_cmp_le_u32_e32 vcc, s18, v7
	v_cndmask_b32_e32 v7, v4, v8, vcc
	v_mov_b32_e32 v8, v3
.LBB0_6:                                ;   in Loop: Header=BB0_2 Depth=1
	s_or_b64 exec, exec, s[0:1]
	v_mul_lo_u32 v4, v8, s18
	v_mul_lo_u32 v11, v7, s19
	v_mad_u64_u32 v[9:10], s[0:1], v7, s18, 0
	s_load_dwordx2 s[0:1], s[6:7], 0x0
	s_add_u32 s16, s16, 1
	v_add3_u32 v4, v10, v11, v4
	v_sub_co_u32_e32 v5, vcc, v5, v9
	v_subb_co_u32_e32 v4, vcc, v6, v4, vcc
	s_waitcnt lgkmcnt(0)
	v_mul_lo_u32 v4, s0, v4
	v_mul_lo_u32 v6, s1, v5
	v_mad_u64_u32 v[1:2], s[0:1], s0, v5, v[1:2]
	s_addc_u32 s17, s17, 0
	s_add_u32 s6, s6, 8
	v_add3_u32 v2, v6, v2, v4
	v_mov_b32_e32 v4, s10
	v_mov_b32_e32 v5, s11
	s_addc_u32 s7, s7, 0
	v_cmp_ge_u64_e32 vcc, s[16:17], v[4:5]
	s_add_u32 s14, s14, 8
	s_addc_u32 s15, s15, 0
	s_cbranch_vccnz .LBB0_9
; %bb.7:                                ;   in Loop: Header=BB0_2 Depth=1
	v_mov_b32_e32 v5, v7
	v_mov_b32_e32 v6, v8
	s_branch .LBB0_2
.LBB0_8:
	v_mov_b32_e32 v8, v6
	v_mov_b32_e32 v7, v5
.LBB0_9:
	s_lshl_b64 s[0:1], s[10:11], 3
	s_add_u32 s0, s2, s0
	s_addc_u32 s1, s3, s1
	s_load_dwordx2 s[2:3], s[0:1], 0x0
	s_load_dwordx2 s[6:7], s[4:5], 0x20
	v_and_b32_e32 v6, 32, v0
	v_and_b32_e32 v78, 31, v0
	v_mov_b32_e32 v3, 0x1a1
	s_waitcnt lgkmcnt(0)
	v_mul_lo_u32 v4, s2, v8
	v_mul_lo_u32 v5, s3, v7
	v_mad_u64_u32 v[1:2], s[0:1], s2, v7, v[1:2]
	v_cmp_gt_u64_e32 vcc, s[6:7], v[7:8]
	v_cmp_le_u64_e64 s[2:3], s[6:7], v[7:8]
	v_cmp_ne_u32_e64 s[0:1], 0, v6
	v_add3_u32 v2, v5, v2, v4
	v_or_b32_e32 v66, 32, v78
	v_or_b32_e32 v71, 64, v78
                                        ; implicit-def: $vgpr73
                                        ; implicit-def: $vgpr70
                                        ; implicit-def: $vgpr69
                                        ; implicit-def: $vgpr68
	s_and_saveexec_b64 s[4:5], s[2:3]
	s_xor_b64 s[2:3], exec, s[4:5]
; %bb.10:
	v_or_b32_e32 v66, 32, v78
	v_or_b32_e32 v71, 64, v78
	;; [unrolled: 1-line block ×6, first 2 shown]
; %bb.11:
	s_or_saveexec_b64 s[2:3], s[2:3]
	v_cndmask_b32_e64 v0, 0, v3, s[0:1]
	v_lshlrev_b64 v[64:65], 4, v[1:2]
	v_lshlrev_b32_e32 v79, 4, v78
	v_lshlrev_b32_e32 v72, 4, v0
	s_xor_b64 exec, exec, s[2:3]
	s_cbranch_execz .LBB0_13
; %bb.12:
	v_mov_b32_e32 v0, s13
	v_add_co_u32_e64 v44, s[0:1], s12, v64
	v_addc_co_u32_e64 v45, s[0:1], v0, v65, s[0:1]
	v_add_co_u32_e64 v32, s[0:1], v44, v79
	v_addc_co_u32_e64 v33, s[0:1], 0, v45, s[0:1]
	global_load_dwordx4 v[0:3], v[32:33], off
	global_load_dwordx4 v[4:7], v[32:33], off offset:512
	global_load_dwordx4 v[8:11], v[32:33], off offset:1024
	;; [unrolled: 1-line block ×7, first 2 shown]
	v_or_b32_e32 v32, 0x1000, v79
	v_add_co_u32_e64 v40, s[0:1], v44, v32
	v_addc_co_u32_e64 v41, s[0:1], 0, v45, s[0:1]
	v_or_b32_e32 v32, 0x1200, v79
	v_add_co_u32_e64 v42, s[0:1], v44, v32
	v_addc_co_u32_e64 v43, s[0:1], 0, v45, s[0:1]
	global_load_dwordx4 v[32:35], v[40:41], off
	global_load_dwordx4 v[36:39], v[42:43], off
	v_or_b32_e32 v40, 0x1400, v79
	v_add_co_u32_e64 v52, s[0:1], v44, v40
	v_or_b32_e32 v41, 0x1600, v79
	v_addc_co_u32_e64 v53, s[0:1], 0, v45, s[0:1]
	v_add_co_u32_e64 v54, s[0:1], v44, v41
	v_or_b32_e32 v42, 0x1800, v79
	v_addc_co_u32_e64 v55, s[0:1], 0, v45, s[0:1]
	v_add_co_u32_e64 v56, s[0:1], v44, v42
	v_addc_co_u32_e64 v57, s[0:1], 0, v45, s[0:1]
	global_load_dwordx4 v[40:43], v[52:53], off
	global_load_dwordx4 v[44:47], v[54:55], off
	;; [unrolled: 1-line block ×3, first 2 shown]
	v_add3_u32 v52, 0, v72, v79
	v_or_b32_e32 v73, 0x60, v78
	v_or_b32_e32 v70, 0x80, v78
	;; [unrolled: 1-line block ×4, first 2 shown]
	s_waitcnt vmcnt(12)
	ds_write_b128 v52, v[0:3]
	s_waitcnt vmcnt(11)
	ds_write_b128 v52, v[4:7] offset:512
	s_waitcnt vmcnt(10)
	ds_write_b128 v52, v[8:11] offset:1024
	;; [unrolled: 2-line block ×12, first 2 shown]
.LBB0_13:
	s_or_b64 exec, exec, s[2:3]
	v_add_u32_e32 v81, 0, v72
	v_add_u32_e32 v80, v81, v79
	s_waitcnt lgkmcnt(0)
	; wave barrier
	s_waitcnt lgkmcnt(0)
	v_add3_u32 v67, 0, v79, v72
	ds_read_b128 v[12:15], v80
	ds_read_b128 v[0:3], v67 offset:512
	ds_read_b128 v[16:19], v67 offset:1024
	ds_read_b128 v[20:23], v67 offset:1536
	ds_read_b128 v[24:27], v67 offset:2048
	ds_read_b128 v[28:31], v67 offset:2560
	s_mov_b32 s30, 0x4267c47c
	s_waitcnt lgkmcnt(4)
	v_add_f64 v[4:5], v[12:13], v[0:1]
	v_add_f64 v[6:7], v[14:15], v[2:3]
	s_mov_b32 s20, 0x42a4c3d2
	s_mov_b32 s18, 0x1ea71119
	s_mov_b32 s4, 0x66966769
	s_mov_b32 s2, 0xebaa3ed8
	s_mov_b32 s31, 0xbfddbe06
	s_mov_b32 s21, 0xbfea55e2
	s_waitcnt lgkmcnt(3)
	v_add_f64 v[4:5], v[4:5], v[16:17]
	v_add_f64 v[6:7], v[6:7], v[18:19]
	s_mov_b32 s19, 0x3fe22d96
	s_mov_b32 s5, 0xbfefc445
	s_mov_b32 s3, 0x3fbedb7d
	s_mov_b32 s22, 0xe00740e9
	s_mov_b32 s23, 0x3fec55a7
	;; [unrolled: 9-line block ×4, first 2 shown]
	s_mov_b32 s10, 0xb2365da1
	s_waitcnt lgkmcnt(0)
	v_add_f64 v[52:53], v[4:5], v[28:29]
	v_add_f64 v[54:55], v[6:7], v[30:31]
	ds_read_b128 v[4:7], v67 offset:3072
	ds_read_b128 v[8:11], v67 offset:3584
	;; [unrolled: 1-line block ×7, first 2 shown]
	s_mov_b32 s38, 0x93053d00
	s_mov_b32 s25, 0x3fddbe06
	s_waitcnt lgkmcnt(2)
	v_add_f64 v[56:57], v[2:3], -v[42:43]
	v_add_f64 v[58:59], v[2:3], v[42:43]
	v_add_f64 v[60:61], v[0:1], v[40:41]
	;; [unrolled: 1-line block ×4, first 2 shown]
	s_waitcnt lgkmcnt(0)
	v_add_f64 v[110:111], v[18:19], v[50:51]
	v_add_f64 v[18:19], v[18:19], -v[50:51]
	s_mov_b32 s24, s30
	v_mul_f64 v[74:75], v[56:57], s[20:21]
	v_mul_f64 v[76:77], v[58:59], s[18:19]
	v_mul_f64 v[82:83], v[56:57], s[4:5]
	v_add_f64 v[2:3], v[52:53], v[8:9]
	v_add_f64 v[52:53], v[54:55], v[10:11]
	v_add_f64 v[54:55], v[0:1], -v[40:41]
	v_mul_f64 v[0:1], v[56:57], s[30:31]
	v_mul_f64 v[84:85], v[58:59], s[2:3]
	v_fma_f64 v[92:93], v[60:61], s[18:19], v[74:75]
	v_mul_f64 v[62:63], v[58:59], s[22:23]
	v_fma_f64 v[96:97], v[60:61], s[2:3], v[82:83]
	v_add_f64 v[2:3], v[2:3], v[32:33]
	v_add_f64 v[52:53], v[52:53], v[34:35]
	v_fma_f64 v[94:95], v[54:55], s[16:17], v[76:77]
	v_fma_f64 v[88:89], v[60:61], s[22:23], v[0:1]
	v_fma_f64 v[0:1], v[60:61], s[22:23], -v[0:1]
	v_fma_f64 v[98:99], v[54:55], s[0:1], v[84:85]
	v_mul_f64 v[86:87], v[56:57], s[6:7]
	v_mul_f64 v[102:103], v[58:59], s[28:29]
	v_add_f64 v[2:3], v[2:3], v[36:37]
	v_add_f64 v[52:53], v[52:53], v[38:39]
	s_mov_b32 s11, 0xbfd6b1d8
	s_mov_b32 s35, 0x3fe5384d
	v_add_f64 v[100:101], v[12:13], v[0:1]
	s_mov_b32 s34, s26
	s_mov_b32 s39, 0xbfef11f4
	v_fma_f64 v[90:91], v[54:55], s[24:25], v[62:63]
	v_add_f64 v[2:3], v[2:3], v[44:45]
	v_add_f64 v[52:53], v[52:53], v[46:47]
	v_fma_f64 v[74:75], v[60:61], s[18:19], -v[74:75]
	v_fma_f64 v[82:83], v[60:61], s[2:3], -v[82:83]
	v_fma_f64 v[108:109], v[54:55], s[34:35], v[102:103]
	v_fma_f64 v[102:103], v[54:55], s[26:27], v[102:103]
	v_add_f64 v[112:113], v[16:17], v[48:49]
	v_add_f64 v[16:17], v[16:17], -v[48:49]
	v_add_f64 v[0:1], v[2:3], v[48:49]
	v_add_f64 v[2:3], v[52:53], v[50:51]
	;; [unrolled: 1-line block ×6, first 2 shown]
	v_mul_f64 v[98:99], v[56:57], s[26:27]
	v_mul_f64 v[56:57], v[56:57], s[36:37]
	v_add_f64 v[0:1], v[0:1], v[40:41]
	v_add_f64 v[2:3], v[2:3], v[42:43]
	v_fma_f64 v[40:41], v[60:61], s[10:11], v[86:87]
	v_mul_f64 v[42:43], v[58:59], s[10:11]
	v_fma_f64 v[86:87], v[60:61], s[10:11], -v[86:87]
	v_mul_f64 v[50:51], v[58:59], s[38:39]
	v_fma_f64 v[106:107], v[60:61], s[28:29], v[98:99]
	v_fma_f64 v[98:99], v[60:61], s[28:29], -v[98:99]
	v_fma_f64 v[58:59], v[60:61], s[38:39], v[56:57]
	v_mul_f64 v[48:49], v[18:19], s[20:21]
	v_mul_f64 v[114:115], v[110:111], s[18:19]
	v_fma_f64 v[56:57], v[60:61], s[38:39], -v[56:57]
	s_mov_b32 s15, 0x3fedeba7
	s_mov_b32 s14, s6
	;; [unrolled: 1-line block ×4, first 2 shown]
	v_fma_f64 v[62:63], v[54:55], s[30:31], v[62:63]
	v_fma_f64 v[76:77], v[54:55], s[20:21], v[76:77]
	;; [unrolled: 1-line block ×3, first 2 shown]
	v_add_f64 v[88:89], v[12:13], v[88:89]
	v_add_f64 v[90:91], v[14:15], v[90:91]
	;; [unrolled: 1-line block ×3, first 2 shown]
	v_fma_f64 v[104:105], v[54:55], s[14:15], v[42:43]
	v_fma_f64 v[42:43], v[54:55], s[6:7], v[42:43]
	v_add_f64 v[82:83], v[12:13], v[82:83]
	v_add_f64 v[40:41], v[12:13], v[40:41]
	;; [unrolled: 1-line block ×4, first 2 shown]
	v_fma_f64 v[116:117], v[54:55], s[40:41], v[50:51]
	v_fma_f64 v[50:51], v[54:55], s[36:37], v[50:51]
	v_add_f64 v[54:55], v[12:13], v[98:99]
	v_add_f64 v[60:61], v[14:15], v[102:103]
	v_fma_f64 v[98:99], v[112:113], s[18:19], v[48:49]
	v_fma_f64 v[102:103], v[16:17], s[16:17], v[114:115]
	v_add_f64 v[58:59], v[12:13], v[58:59]
	v_add_f64 v[12:13], v[12:13], v[56:57]
	v_mul_f64 v[56:57], v[110:111], s[10:11]
	v_add_f64 v[62:63], v[14:15], v[62:63]
	v_add_f64 v[76:77], v[14:15], v[76:77]
	;; [unrolled: 1-line block ×8, first 2 shown]
	v_mul_f64 v[50:51], v[18:19], s[6:7]
	v_add_f64 v[88:89], v[98:99], v[88:89]
	v_add_f64 v[90:91], v[102:103], v[90:91]
	v_fma_f64 v[48:49], v[112:113], s[18:19], -v[48:49]
	v_fma_f64 v[98:99], v[16:17], s[20:21], v[114:115]
	v_mul_f64 v[102:103], v[18:19], s[36:37]
	v_mul_f64 v[114:115], v[110:111], s[38:39]
	v_fma_f64 v[120:121], v[16:17], s[14:15], v[56:57]
	v_fma_f64 v[56:57], v[16:17], s[6:7], v[56:57]
	;; [unrolled: 1-line block ×3, first 2 shown]
	v_fma_f64 v[50:51], v[112:113], s[10:11], -v[50:51]
	v_add_f64 v[48:49], v[48:49], v[100:101]
	v_add_f64 v[62:63], v[98:99], v[62:63]
	v_fma_f64 v[98:99], v[112:113], s[38:39], v[102:103]
	v_fma_f64 v[100:101], v[16:17], s[40:41], v[114:115]
	v_add_f64 v[92:93], v[120:121], v[92:93]
	v_add_f64 v[56:57], v[56:57], v[76:77]
	v_mul_f64 v[76:77], v[110:111], s[28:29]
	v_add_f64 v[50:51], v[50:51], v[74:75]
	v_mul_f64 v[74:75], v[18:19], s[34:35]
	v_fma_f64 v[102:103], v[112:113], s[38:39], -v[102:103]
	v_add_f64 v[94:95], v[98:99], v[94:95]
	v_add_f64 v[96:97], v[100:101], v[96:97]
	v_mul_f64 v[98:99], v[18:19], s[0:1]
	v_mul_f64 v[100:101], v[110:111], s[2:3]
	v_fma_f64 v[120:121], v[16:17], s[26:27], v[76:77]
	v_add_f64 v[52:53], v[118:119], v[52:53]
	v_fma_f64 v[118:119], v[112:113], s[28:29], v[74:75]
	v_fma_f64 v[74:75], v[112:113], s[28:29], -v[74:75]
	v_fma_f64 v[76:77], v[16:17], s[34:35], v[76:77]
	v_add_f64 v[82:83], v[102:103], v[82:83]
	v_fma_f64 v[122:123], v[112:113], s[2:3], v[98:99]
	v_fma_f64 v[124:125], v[16:17], s[4:5], v[100:101]
	v_add_f64 v[102:103], v[120:121], v[104:105]
	v_add_f64 v[104:105], v[22:23], -v[46:47]
	v_add_f64 v[22:23], v[22:23], v[46:47]
	v_fma_f64 v[114:115], v[16:17], s[36:37], v[114:115]
	v_add_f64 v[74:75], v[74:75], v[86:87]
	v_add_f64 v[42:43], v[76:77], v[42:43]
	;; [unrolled: 1-line block ×4, first 2 shown]
	v_mul_f64 v[18:19], v[18:19], s[24:25]
	v_mul_f64 v[46:47], v[110:111], s[22:23]
	v_fma_f64 v[98:99], v[112:113], s[2:3], -v[98:99]
	v_fma_f64 v[100:101], v[16:17], s[0:1], v[100:101]
	v_add_f64 v[106:107], v[20:21], v[44:45]
	v_add_f64 v[20:21], v[20:21], -v[44:45]
	v_mul_f64 v[44:45], v[104:105], s[4:5]
	v_mul_f64 v[108:109], v[22:23], s[2:3]
	v_add_f64 v[84:85], v[114:115], v[84:85]
	v_fma_f64 v[110:111], v[112:113], s[22:23], v[18:19]
	v_fma_f64 v[114:115], v[16:17], s[30:31], v[46:47]
	v_fma_f64 v[18:19], v[112:113], s[22:23], -v[18:19]
	v_fma_f64 v[16:17], v[16:17], s[24:25], v[46:47]
	v_add_f64 v[46:47], v[98:99], v[54:55]
	v_add_f64 v[54:55], v[100:101], v[60:61]
	v_fma_f64 v[60:61], v[106:107], s[2:3], v[44:45]
	v_fma_f64 v[98:99], v[20:21], s[0:1], v[108:109]
	v_fma_f64 v[44:45], v[106:107], s[2:3], -v[44:45]
	v_add_f64 v[58:59], v[110:111], v[58:59]
	v_add_f64 v[12:13], v[18:19], v[12:13]
	v_mul_f64 v[18:19], v[22:23], s[38:39]
	v_add_f64 v[14:15], v[16:17], v[14:15]
	v_mul_f64 v[16:17], v[104:105], s[36:37]
	v_add_f64 v[60:61], v[60:61], v[88:89]
	v_add_f64 v[88:89], v[98:99], v[90:91]
	v_fma_f64 v[90:91], v[20:21], s[4:5], v[108:109]
	v_mul_f64 v[98:99], v[104:105], s[14:15]
	v_mul_f64 v[108:109], v[22:23], s[10:11]
	v_fma_f64 v[112:113], v[20:21], s[40:41], v[18:19]
	v_fma_f64 v[18:19], v[20:21], s[36:37], v[18:19]
	v_add_f64 v[44:45], v[44:45], v[48:49]
	v_fma_f64 v[110:111], v[106:107], s[38:39], v[16:17]
	v_fma_f64 v[16:17], v[106:107], s[38:39], -v[16:17]
	v_add_f64 v[48:49], v[90:91], v[62:63]
	v_fma_f64 v[62:63], v[106:107], s[10:11], v[98:99]
	v_fma_f64 v[90:91], v[20:21], s[6:7], v[108:109]
	v_add_f64 v[100:101], v[114:115], v[116:117]
	v_add_f64 v[18:19], v[18:19], v[56:57]
	v_mul_f64 v[56:57], v[22:23], s[22:23]
	v_add_f64 v[92:93], v[112:113], v[92:93]
	v_add_f64 v[16:17], v[16:17], v[50:51]
	v_mul_f64 v[50:51], v[104:105], s[24:25]
	v_add_f64 v[62:63], v[62:63], v[94:95]
	v_mul_f64 v[94:95], v[104:105], s[20:21]
	;; [unrolled: 2-line block ×3, first 2 shown]
	v_fma_f64 v[112:113], v[20:21], s[30:31], v[56:57]
	v_fma_f64 v[56:57], v[20:21], s[24:25], v[56:57]
	v_add_f64 v[52:53], v[110:111], v[52:53]
	v_fma_f64 v[98:99], v[106:107], s[10:11], -v[98:99]
	v_fma_f64 v[108:109], v[20:21], s[14:15], v[108:109]
	v_fma_f64 v[114:115], v[106:107], s[18:19], v[94:95]
	;; [unrolled: 1-line block ×3, first 2 shown]
	v_fma_f64 v[50:51], v[106:107], s[22:23], -v[50:51]
	v_fma_f64 v[116:117], v[20:21], s[16:17], v[96:97]
	v_add_f64 v[42:43], v[56:57], v[42:43]
	v_mul_f64 v[22:23], v[22:23], s[28:29]
	v_add_f64 v[82:83], v[98:99], v[82:83]
	v_add_f64 v[84:85], v[108:109], v[84:85]
	;; [unrolled: 1-line block ×3, first 2 shown]
	v_add_f64 v[76:77], v[26:27], -v[38:39]
	v_add_f64 v[26:27], v[26:27], v[38:39]
	v_mul_f64 v[38:39], v[104:105], s[26:27]
	v_add_f64 v[98:99], v[112:113], v[102:103]
	v_add_f64 v[50:51], v[50:51], v[74:75]
	;; [unrolled: 1-line block ×3, first 2 shown]
	v_fma_f64 v[86:87], v[106:107], s[18:19], -v[94:95]
	v_fma_f64 v[94:95], v[20:21], s[20:21], v[96:97]
	v_add_f64 v[96:97], v[24:25], v[36:37]
	v_add_f64 v[24:25], v[24:25], -v[36:37]
	v_mul_f64 v[36:37], v[76:77], s[6:7]
	v_mul_f64 v[102:103], v[26:27], s[10:11]
	v_fma_f64 v[104:105], v[106:107], s[28:29], v[38:39]
	v_fma_f64 v[108:109], v[20:21], s[34:35], v[22:23]
	v_fma_f64 v[38:39], v[106:107], s[28:29], -v[38:39]
	v_fma_f64 v[20:21], v[20:21], s[26:27], v[22:23]
	v_add_f64 v[22:23], v[86:87], v[46:47]
	v_add_f64 v[46:47], v[94:95], v[54:55]
	v_fma_f64 v[54:55], v[96:97], s[10:11], v[36:37]
	v_fma_f64 v[86:87], v[24:25], s[14:15], v[102:103]
	v_add_f64 v[58:59], v[104:105], v[58:59]
	v_add_f64 v[94:95], v[108:109], v[100:101]
	;; [unrolled: 1-line block ×4, first 2 shown]
	v_mul_f64 v[20:21], v[76:77], s[34:35]
	v_mul_f64 v[38:39], v[26:27], s[28:29]
	v_add_f64 v[60:61], v[54:55], v[60:61]
	v_add_f64 v[86:87], v[86:87], v[88:89]
	v_fma_f64 v[36:37], v[96:97], s[10:11], -v[36:37]
	v_fma_f64 v[54:55], v[24:25], s[6:7], v[102:103]
	v_mul_f64 v[88:89], v[76:77], s[24:25]
	v_mul_f64 v[100:101], v[26:27], s[22:23]
	v_fma_f64 v[102:103], v[96:97], s[28:29], v[20:21]
	v_fma_f64 v[104:105], v[24:25], s[26:27], v[38:39]
	v_fma_f64 v[20:21], v[96:97], s[28:29], -v[20:21]
	v_fma_f64 v[38:39], v[24:25], s[34:35], v[38:39]
	v_add_f64 v[36:37], v[36:37], v[44:45]
	v_add_f64 v[106:107], v[54:55], v[48:49]
	v_fma_f64 v[44:45], v[96:97], s[22:23], v[88:89]
	v_fma_f64 v[48:49], v[24:25], s[30:31], v[100:101]
	v_add_f64 v[40:41], v[118:119], v[40:41]
	v_add_f64 v[102:103], v[102:103], v[52:53]
	;; [unrolled: 1-line block ×4, first 2 shown]
	v_mul_f64 v[20:21], v[76:77], s[4:5]
	v_mul_f64 v[38:39], v[26:27], s[2:3]
	v_add_f64 v[62:63], v[44:45], v[62:63]
	v_add_f64 v[90:91], v[48:49], v[90:91]
	v_fma_f64 v[44:45], v[96:97], s[22:23], -v[88:89]
	v_fma_f64 v[48:49], v[24:25], s[24:25], v[100:101]
	v_mul_f64 v[52:53], v[76:77], s[40:41]
	v_mul_f64 v[54:55], v[26:27], s[38:39]
	v_fma_f64 v[88:89], v[96:97], s[2:3], v[20:21]
	v_fma_f64 v[100:101], v[24:25], s[0:1], v[38:39]
	v_fma_f64 v[20:21], v[96:97], s[2:3], -v[20:21]
	v_add_f64 v[112:113], v[30:31], -v[34:35]
	v_add_f64 v[40:41], v[110:111], v[40:41]
	v_fma_f64 v[38:39], v[24:25], s[4:5], v[38:39]
	v_add_f64 v[82:83], v[44:45], v[82:83]
	v_add_f64 v[84:85], v[48:49], v[84:85]
	v_fma_f64 v[44:45], v[96:97], s[38:39], v[52:53]
	v_fma_f64 v[48:49], v[24:25], s[36:37], v[54:55]
	v_add_f64 v[98:99], v[100:101], v[98:99]
	v_add_f64 v[100:101], v[20:21], v[50:51]
	v_mul_f64 v[20:21], v[76:77], s[16:17]
	v_mul_f64 v[26:27], v[26:27], s[18:19]
	v_add_f64 v[114:115], v[30:31], v[34:35]
	v_fma_f64 v[30:31], v[96:97], s[38:39], -v[52:53]
	v_fma_f64 v[34:35], v[24:25], s[40:41], v[54:55]
	v_add_f64 v[52:53], v[28:29], v[32:33]
	v_add_f64 v[54:55], v[28:29], -v[32:33]
	v_mul_f64 v[28:29], v[112:113], s[26:27]
	v_add_f64 v[92:93], v[104:105], v[92:93]
	v_add_f64 v[88:89], v[88:89], v[40:41]
	;; [unrolled: 1-line block ×4, first 2 shown]
	v_fma_f64 v[38:39], v[96:97], s[18:19], v[20:21]
	v_fma_f64 v[40:41], v[24:25], s[20:21], v[26:27]
	v_mul_f64 v[32:33], v[114:115], s[28:29]
	v_fma_f64 v[20:21], v[96:97], s[18:19], -v[20:21]
	v_fma_f64 v[24:25], v[24:25], s[16:17], v[26:27]
	v_add_f64 v[74:75], v[30:31], v[22:23]
	v_fma_f64 v[22:23], v[52:53], s[28:29], v[28:29]
	v_add_f64 v[108:109], v[44:45], v[56:57]
	v_add_f64 v[76:77], v[34:35], v[46:47]
	v_mul_f64 v[34:35], v[112:113], s[40:41]
	v_fma_f64 v[26:27], v[54:55], s[34:35], v[32:33]
	v_add_f64 v[44:45], v[20:21], v[12:13]
	v_add_f64 v[46:47], v[24:25], v[14:15]
	v_mul_f64 v[12:13], v[112:113], s[0:1]
	v_mul_f64 v[14:15], v[114:115], s[2:3]
	v_fma_f64 v[20:21], v[52:53], s[28:29], -v[28:29]
	v_add_f64 v[48:49], v[22:23], v[60:61]
	v_mul_f64 v[22:23], v[112:113], s[20:21]
	v_fma_f64 v[24:25], v[54:55], s[26:27], v[32:33]
	v_add_f64 v[50:51], v[26:27], v[86:87]
	v_mul_f64 v[32:33], v[114:115], s[18:19]
	v_fma_f64 v[26:27], v[52:53], s[2:3], v[12:13]
	v_fma_f64 v[28:29], v[54:55], s[4:5], v[14:15]
	v_add_f64 v[36:37], v[20:21], v[36:37]
	v_fma_f64 v[12:13], v[52:53], s[2:3], -v[12:13]
	v_fma_f64 v[14:15], v[54:55], s[0:1], v[14:15]
	v_fma_f64 v[20:21], v[52:53], s[18:19], v[22:23]
	v_mul_f64 v[60:61], v[114:115], s[38:39]
	v_add_f64 v[56:57], v[38:39], v[58:59]
	v_add_f64 v[58:59], v[40:41], v[94:95]
	;; [unrolled: 1-line block ×3, first 2 shown]
	v_fma_f64 v[30:31], v[54:55], s[16:17], v[32:33]
	v_add_f64 v[40:41], v[26:27], v[102:103]
	v_add_f64 v[42:43], v[28:29], v[92:93]
	;; [unrolled: 1-line block ×5, first 2 shown]
	v_fma_f64 v[12:13], v[52:53], s[18:19], -v[22:23]
	v_fma_f64 v[14:15], v[54:55], s[20:21], v[32:33]
	v_fma_f64 v[16:17], v[52:53], s[38:39], v[34:35]
	;; [unrolled: 1-line block ×3, first 2 shown]
	v_mul_f64 v[62:63], v[112:113], s[24:25]
	v_mul_f64 v[86:87], v[114:115], s[22:23]
	v_fma_f64 v[60:61], v[54:55], s[40:41], v[60:61]
	v_add_f64 v[30:31], v[30:31], v[90:91]
	v_fma_f64 v[90:91], v[52:53], s[38:39], -v[34:35]
	v_add_f64 v[32:33], v[12:13], v[82:83]
	v_add_f64 v[34:35], v[14:15], v[84:85]
	;; [unrolled: 1-line block ×4, first 2 shown]
	v_fma_f64 v[12:13], v[52:53], s[22:23], v[62:63]
	v_fma_f64 v[14:15], v[54:55], s[30:31], v[86:87]
	v_add_f64 v[18:19], v[60:61], v[104:105]
	v_fma_f64 v[82:83], v[52:53], s[22:23], -v[62:63]
	v_fma_f64 v[84:85], v[54:55], s[24:25], v[86:87]
	v_mul_f64 v[60:61], v[112:113], s[6:7]
	v_mul_f64 v[62:63], v[114:115], s[10:11]
	v_add_f64 v[86:87], v[6:7], -v[10:11]
	v_add_f64 v[88:89], v[6:7], v[10:11]
	v_add_f64 v[16:17], v[90:91], v[100:101]
	v_add_f64 v[12:13], v[12:13], v[108:109]
	v_add_f64 v[10:11], v[82:83], v[74:75]
	v_add_f64 v[74:75], v[84:85], v[76:77]
	v_fma_f64 v[6:7], v[52:53], s[10:11], v[60:61]
	v_fma_f64 v[82:83], v[54:55], s[14:15], v[62:63]
	v_add_f64 v[76:77], v[4:5], v[8:9]
	v_add_f64 v[8:9], v[4:5], -v[8:9]
	v_mul_f64 v[4:5], v[86:87], s[36:37]
	v_mul_f64 v[84:85], v[88:89], s[38:39]
	v_fma_f64 v[52:53], v[52:53], s[10:11], -v[60:61]
	v_fma_f64 v[54:55], v[54:55], s[6:7], v[62:63]
	v_mul_f64 v[60:61], v[86:87], s[24:25]
	v_mul_f64 v[62:63], v[88:89], s[22:23]
	v_add_f64 v[56:57], v[6:7], v[56:57]
	v_add_f64 v[58:59], v[82:83], v[58:59]
	v_fma_f64 v[6:7], v[76:77], s[38:39], v[4:5]
	v_fma_f64 v[82:83], v[8:9], s[40:41], v[84:85]
	v_fma_f64 v[4:5], v[76:77], s[38:39], -v[4:5]
	v_fma_f64 v[84:85], v[8:9], s[36:37], v[84:85]
	v_fma_f64 v[90:91], v[76:77], s[22:23], v[60:61]
	;; [unrolled: 1-line block ×3, first 2 shown]
	v_add_f64 v[52:53], v[52:53], v[44:45]
	v_add_f64 v[54:55], v[54:55], v[46:47]
	;; [unrolled: 1-line block ×4, first 2 shown]
	v_mul_f64 v[48:49], v[86:87], s[26:27]
	v_mul_f64 v[50:51], v[88:89], s[28:29]
	v_add_f64 v[4:5], v[4:5], v[36:37]
	v_add_f64 v[6:7], v[84:85], v[38:39]
	;; [unrolled: 1-line block ×4, first 2 shown]
	v_fma_f64 v[40:41], v[76:77], s[22:23], -v[60:61]
	v_fma_f64 v[42:43], v[8:9], s[24:25], v[62:63]
	v_mul_f64 v[82:83], v[86:87], s[16:17]
	v_mul_f64 v[84:85], v[88:89], s[18:19]
	v_fma_f64 v[60:61], v[76:77], s[28:29], v[48:49]
	v_fma_f64 v[62:63], v[8:9], s[34:35], v[50:51]
	v_fma_f64 v[48:49], v[76:77], s[28:29], -v[48:49]
	v_fma_f64 v[50:51], v[8:9], s[26:27], v[50:51]
	v_add_f64 v[24:25], v[40:41], v[24:25]
	v_add_f64 v[26:27], v[42:43], v[26:27]
	v_fma_f64 v[40:41], v[76:77], s[18:19], v[82:83]
	v_fma_f64 v[42:43], v[8:9], s[20:21], v[84:85]
	v_add_f64 v[28:29], v[60:61], v[28:29]
	v_add_f64 v[30:31], v[62:63], v[30:31]
	;; [unrolled: 1-line block ×4, first 2 shown]
	v_fma_f64 v[48:49], v[76:77], s[18:19], -v[82:83]
	v_fma_f64 v[50:51], v[8:9], s[16:17], v[84:85]
	v_mul_f64 v[60:61], v[86:87], s[6:7]
	v_mul_f64 v[62:63], v[88:89], s[10:11]
	v_add_f64 v[20:21], v[40:41], v[20:21]
	v_add_f64 v[22:23], v[42:43], v[22:23]
	v_mul_f64 v[40:41], v[86:87], s[0:1]
	v_mul_f64 v[42:43], v[88:89], s[2:3]
	v_add_f64 v[14:15], v[14:15], v[110:111]
	v_add_f64 v[16:17], v[48:49], v[16:17]
	;; [unrolled: 1-line block ×3, first 2 shown]
	v_fma_f64 v[48:49], v[76:77], s[10:11], v[60:61]
	v_fma_f64 v[50:51], v[8:9], s[14:15], v[62:63]
	v_fma_f64 v[60:61], v[76:77], s[10:11], -v[60:61]
	v_fma_f64 v[82:83], v[76:77], s[2:3], v[40:41]
	v_fma_f64 v[84:85], v[8:9], s[4:5], v[42:43]
	;; [unrolled: 1-line block ×3, first 2 shown]
	v_fma_f64 v[76:77], v[76:77], s[2:3], -v[40:41]
	v_fma_f64 v[86:87], v[8:9], s[0:1], v[42:43]
	v_add_f64 v[12:13], v[48:49], v[12:13]
	v_add_f64 v[14:15], v[50:51], v[14:15]
	s_movk_i32 s0, 0xc0
	v_add_f64 v[40:41], v[82:83], v[56:57]
	v_add_f64 v[42:43], v[84:85], v[58:59]
	;; [unrolled: 1-line block ×6, first 2 shown]
	v_mad_u32_u24 v52, v78, s0, v67
	v_lshl_add_u32 v82, v71, 4, v81
	v_lshl_add_u32 v76, v70, 4, v81
	s_waitcnt lgkmcnt(0)
	; wave barrier
	ds_write_b128 v52, v[0:3]
	ds_write_b128 v52, v[44:47] offset:16
	ds_write_b128 v52, v[36:39] offset:32
	;; [unrolled: 1-line block ×12, first 2 shown]
	s_waitcnt lgkmcnt(0)
	; wave barrier
	s_waitcnt lgkmcnt(0)
	ds_read_b128 v[0:3], v80
	ds_read_b128 v[8:11], v67 offset:3328
	v_lshl_add_u32 v83, v66, 4, v81
	ds_read_b128 v[12:15], v67 offset:3840
	ds_read_b128 v[16:19], v67 offset:4352
	v_lshl_add_u32 v77, v73, 4, v81
	ds_read_b128 v[20:23], v82
	ds_read_b128 v[32:35], v77
	ds_read_b128 v[28:31], v67 offset:4864
	ds_read_b128 v[36:39], v67 offset:5376
	v_lshl_add_u32 v75, v69, 4, v81
	ds_read_b128 v[56:59], v76
	ds_read_b128 v[52:55], v75
	;; [unrolled: 1-line block ×3, first 2 shown]
	ds_read_b128 v[40:43], v67 offset:5888
	v_cmp_gt_u32_e64 s[0:1], 16, v78
                                        ; implicit-def: $vgpr46_vgpr47
	s_and_saveexec_b64 s[2:3], s[0:1]
	s_cbranch_execz .LBB0_15
; %bb.14:
	v_lshlrev_b32_e32 v4, 4, v68
	v_add3_u32 v4, 0, v4, v72
	ds_read_b128 v[4:7], v4
	ds_read_b128 v[44:47], v67 offset:6400
.LBB0_15:
	s_or_b64 exec, exec, s[2:3]
	s_movk_i32 s2, 0x4f
	v_mul_lo_u16_sdwa v60, v71, s2 dst_sel:DWORD dst_unused:UNUSED_PAD src0_sel:BYTE_0 src1_sel:DWORD
	v_lshrrev_b16_e32 v109, 10, v60
	v_mul_lo_u16_e32 v60, 13, v109
	v_mov_b32_e32 v61, 4
	v_sub_u16_e32 v60, v71, v60
	v_lshlrev_b32_sdwa v110, v61, v60 dst_sel:DWORD dst_unused:UNUSED_PAD src0_sel:DWORD src1_sel:BYTE_0
	v_mul_lo_u16_sdwa v60, v73, s2 dst_sel:DWORD dst_unused:UNUSED_PAD src0_sel:BYTE_0 src1_sel:DWORD
	v_lshrrev_b16_e32 v111, 10, v60
	v_mul_lo_u16_e32 v60, 13, v111
	v_sub_u16_e32 v60, v73, v60
	v_lshlrev_b32_sdwa v112, v61, v60 dst_sel:DWORD dst_unused:UNUSED_PAD src0_sel:DWORD src1_sel:BYTE_0
	v_mul_lo_u16_sdwa v60, v70, s2 dst_sel:DWORD dst_unused:UNUSED_PAD src0_sel:BYTE_0 src1_sel:DWORD
	v_lshrrev_b16_e32 v120, 10, v60
	v_mul_lo_u16_e32 v60, 13, v120
	v_mul_lo_u16_e32 v48, 20, v78
	v_sub_u16_e32 v60, v70, v60
	v_lshrrev_b16_e32 v62, 8, v48
	v_lshlrev_b32_sdwa v121, v61, v60 dst_sel:DWORD dst_unused:UNUSED_PAD src0_sel:DWORD src1_sel:BYTE_0
	v_mul_lo_u16_sdwa v60, v69, s2 dst_sel:DWORD dst_unused:UNUSED_PAD src0_sel:BYTE_0 src1_sel:DWORD
	v_mul_lo_u16_e32 v48, 13, v62
	v_lshrrev_b16_e32 v122, 10, v60
	v_sub_u16_e32 v48, v78, v48
	v_mul_lo_u16_e32 v60, 13, v122
	v_lshlrev_b32_sdwa v63, v61, v48 dst_sel:DWORD dst_unused:UNUSED_PAD src0_sel:DWORD src1_sel:BYTE_0
	v_mul_lo_u16_sdwa v48, v66, s2 dst_sel:DWORD dst_unused:UNUSED_PAD src0_sel:BYTE_0 src1_sel:DWORD
	v_sub_u16_e32 v60, v69, v60
	v_lshrrev_b16_e32 v74, 10, v48
	v_lshlrev_b32_sdwa v123, v61, v60 dst_sel:DWORD dst_unused:UNUSED_PAD src0_sel:DWORD src1_sel:BYTE_0
	v_mul_lo_u16_sdwa v60, v68, s2 dst_sel:DWORD dst_unused:UNUSED_PAD src0_sel:BYTE_0 src1_sel:DWORD
	v_mul_lo_u16_e32 v48, 13, v74
	v_lshrrev_b16_e32 v60, 10, v60
	v_sub_u16_e32 v48, v66, v48
	v_mul_lo_u16_e32 v104, 13, v60
	v_lshlrev_b32_sdwa v108, v61, v48 dst_sel:DWORD dst_unused:UNUSED_PAD src0_sel:DWORD src1_sel:BYTE_0
	global_load_dwordx4 v[48:51], v63, s[8:9]
	global_load_dwordx4 v[84:87], v108, s[8:9]
	;; [unrolled: 1-line block ×4, first 2 shown]
	v_sub_u16_e32 v104, v68, v104
	global_load_dwordx4 v[96:99], v121, s[8:9]
	global_load_dwordx4 v[100:103], v123, s[8:9]
	v_lshlrev_b32_sdwa v61, v61, v104 dst_sel:DWORD dst_unused:UNUSED_PAD src0_sel:DWORD src1_sel:BYTE_0
	global_load_dwordx4 v[104:107], v61, s[8:9]
	s_movk_i32 s4, 0x1a0
	v_mad_u32_u24 v62, v62, s4, 0
	v_mad_u32_u24 v111, v111, s4, 0
	v_add3_u32 v124, v62, v63, v72
	v_add3_u32 v126, v111, v112, v72
	v_mad_u32_u24 v74, v74, s4, 0
	v_mad_u32_u24 v109, v109, s4, 0
	v_add3_u32 v74, v74, v108, v72
	v_add3_u32 v125, v109, v110, v72
	s_waitcnt lgkmcnt(0)
	; wave barrier
	s_waitcnt vmcnt(6) lgkmcnt(0)
	v_mul_f64 v[62:63], v[10:11], v[50:51]
	v_mul_f64 v[50:51], v[8:9], v[50:51]
	s_waitcnt vmcnt(3)
	v_mul_f64 v[112:113], v[30:31], v[94:95]
	v_mul_f64 v[94:95], v[28:29], v[94:95]
	s_waitcnt vmcnt(2)
	v_mul_f64 v[114:115], v[38:39], v[98:99]
	v_mul_f64 v[98:99], v[36:37], v[98:99]
	;; [unrolled: 1-line block ×6, first 2 shown]
	s_waitcnt vmcnt(1)
	v_mul_f64 v[116:117], v[42:43], v[102:103]
	v_mul_f64 v[102:103], v[40:41], v[102:103]
	s_waitcnt vmcnt(0)
	v_mul_f64 v[118:119], v[46:47], v[106:107]
	v_mul_f64 v[106:107], v[44:45], v[106:107]
	v_fma_f64 v[8:9], v[8:9], v[48:49], v[62:63]
	v_fma_f64 v[10:11], v[10:11], v[48:49], -v[50:51]
	v_fma_f64 v[28:29], v[28:29], v[92:93], v[112:113]
	v_fma_f64 v[30:31], v[30:31], v[92:93], -v[94:95]
	;; [unrolled: 2-line block ×7, first 2 shown]
	v_add_f64 v[8:9], v[0:1], -v[8:9]
	v_add_f64 v[10:11], v[2:3], -v[10:11]
	;; [unrolled: 1-line block ×14, first 2 shown]
	v_fma_f64 v[0:1], v[0:1], 2.0, -v[8:9]
	v_fma_f64 v[2:3], v[2:3], 2.0, -v[10:11]
	;; [unrolled: 1-line block ×14, first 2 shown]
	v_mad_u32_u24 v56, v120, s4, 0
	v_add3_u32 v56, v56, v121, v72
	ds_write_b128 v124, v[8:11] offset:208
	ds_write_b128 v124, v[0:3]
	ds_write_b128 v74, v[12:15] offset:208
	ds_write_b128 v74, v[24:27]
	ds_write_b128 v125, v[20:23]
	ds_write_b128 v125, v[16:19] offset:208
	ds_write_b128 v126, v[36:39]
	ds_write_b128 v126, v[28:31] offset:208
	;; [unrolled: 2-line block ×3, first 2 shown]
	v_mad_u32_u24 v56, v122, s4, 0
	v_add3_u32 v56, v56, v123, v72
	ds_write_b128 v56, v[52:55]
	ds_write_b128 v56, v[44:47] offset:208
	s_and_saveexec_b64 s[2:3], s[0:1]
	s_cbranch_execz .LBB0_17
; %bb.16:
	v_mad_u32_u24 v56, v60, s4, 0
	v_add3_u32 v56, v56, v61, v72
	ds_write_b128 v56, v[4:7]
	ds_write_b128 v56, v[48:51] offset:208
.LBB0_17:
	s_or_b64 exec, exec, s[2:3]
	v_cmp_gt_u32_e64 s[0:1], 26, v78
	s_waitcnt lgkmcnt(0)
	; wave barrier
	s_waitcnt lgkmcnt(0)
                                        ; implicit-def: $vgpr58_vgpr59
                                        ; implicit-def: $vgpr62_vgpr63
	s_and_saveexec_b64 s[2:3], s[0:1]
	s_cbranch_execz .LBB0_19
; %bb.18:
	ds_read_b128 v[0:3], v80
	ds_read_b128 v[8:11], v67 offset:416
	ds_read_b128 v[24:27], v67 offset:832
	;; [unrolled: 1-line block ×15, first 2 shown]
.LBB0_19:
	s_or_b64 exec, exec, s[2:3]
	s_waitcnt lgkmcnt(0)
	; wave barrier
	s_waitcnt lgkmcnt(0)
	s_and_saveexec_b64 s[2:3], s[0:1]
	s_cbranch_execz .LBB0_21
; %bb.20:
	v_subrev_u32_e32 v72, 26, v78
	v_cndmask_b32_e64 v72, v72, v78, s[0:1]
	v_mul_i32_i24_e32 v84, 15, v72
	v_mov_b32_e32 v85, 0
	v_lshlrev_b64 v[84:85], 4, v[84:85]
	v_mov_b32_e32 v72, s9
	v_add_co_u32_e64 v140, s[0:1], s8, v84
	v_addc_co_u32_e64 v141, s[0:1], v72, v85, s[0:1]
	global_load_dwordx4 v[84:87], v[140:141], off offset:224
	global_load_dwordx4 v[88:91], v[140:141], off offset:352
	;; [unrolled: 1-line block ×14, first 2 shown]
	s_nop 0
	global_load_dwordx4 v[140:143], v[140:141], off offset:400
	s_mov_b32 s0, 0x667f3bcd
	s_mov_b32 s1, 0x3fe6a09e
	;; [unrolled: 1-line block ×12, first 2 shown]
	s_waitcnt vmcnt(14)
	v_mul_f64 v[144:145], v[24:25], v[86:87]
	s_waitcnt vmcnt(13)
	v_mul_f64 v[146:147], v[52:53], v[90:91]
	;; [unrolled: 2-line block ×15, first 2 shown]
	v_mul_f64 v[86:87], v[26:27], v[86:87]
	v_mul_f64 v[90:91], v[54:55], v[90:91]
	;; [unrolled: 1-line block ×15, first 2 shown]
	v_fma_f64 v[26:27], v[26:27], v[84:85], -v[144:145]
	v_fma_f64 v[54:55], v[54:55], v[88:89], -v[146:147]
	v_fma_f64 v[36:37], v[36:37], v[92:93], v[148:149]
	v_fma_f64 v[56:57], v[56:57], v[96:97], v[150:151]
	v_fma_f64 v[14:15], v[14:15], v[100:101], -v[152:153]
	v_fma_f64 v[46:47], v[46:47], v[104:105], -v[154:155]
	v_fma_f64 v[28:29], v[28:29], v[112:113], v[158:159]
	v_fma_f64 v[60:61], v[60:61], v[124:125], v[164:165]
	v_fma_f64 v[10:11], v[10:11], v[128:129], -v[166:167]
	v_fma_f64 v[34:35], v[34:35], v[108:109], -v[156:157]
	v_fma_f64 v[20:21], v[20:21], v[116:117], v[160:161]
	v_fma_f64 v[4:5], v[4:5], v[120:121], v[162:163]
	v_fma_f64 v[42:43], v[42:43], v[132:133], -v[168:169]
	v_fma_f64 v[16:17], v[16:17], v[136:137], v[170:171]
	v_fma_f64 v[48:49], v[48:49], v[140:141], v[172:173]
	;; [unrolled: 1-line block ×4, first 2 shown]
	v_fma_f64 v[38:39], v[38:39], v[92:93], -v[94:95]
	v_fma_f64 v[58:59], v[58:59], v[96:97], -v[98:99]
	v_fma_f64 v[12:13], v[12:13], v[100:101], v[102:103]
	v_fma_f64 v[44:45], v[44:45], v[104:105], v[106:107]
	v_fma_f64 v[30:31], v[30:31], v[112:113], -v[114:115]
	v_fma_f64 v[62:63], v[62:63], v[124:125], -v[126:127]
	v_fma_f64 v[8:9], v[8:9], v[128:129], v[130:131]
	v_fma_f64 v[40:41], v[40:41], v[132:133], v[134:135]
	v_fma_f64 v[18:19], v[18:19], v[136:137], -v[138:139]
	v_fma_f64 v[50:51], v[50:51], v[140:141], -v[142:143]
	v_add_f64 v[54:55], v[26:27], -v[54:55]
	v_add_f64 v[56:57], v[36:37], -v[56:57]
	v_add_f64 v[34:35], v[2:3], -v[34:35]
	v_add_f64 v[4:5], v[20:21], -v[4:5]
	v_add_f64 v[42:43], v[10:11], -v[42:43]
	v_add_f64 v[48:49], v[16:17], -v[48:49]
	v_add_f64 v[46:47], v[14:15], -v[46:47]
	v_add_f64 v[60:61], v[28:29], -v[60:61]
	v_fma_f64 v[22:23], v[22:23], v[116:117], -v[118:119]
	v_fma_f64 v[6:7], v[6:7], v[120:121], -v[122:123]
	v_fma_f64 v[32:33], v[32:33], v[108:109], v[110:111]
	v_add_f64 v[52:53], v[24:25], -v[52:53]
	v_add_f64 v[58:59], v[38:39], -v[58:59]
	;; [unrolled: 1-line block ×12, first 2 shown]
	v_add_f64 v[92:93], v[52:53], v[58:59]
	v_add_f64 v[94:95], v[44:45], v[62:63]
	;; [unrolled: 1-line block ×3, first 2 shown]
	v_fma_f64 v[100:101], v[84:85], s[0:1], v[86:87]
	v_fma_f64 v[104:105], v[2:3], 2.0, -v[34:35]
	v_fma_f64 v[102:103], v[90:91], s[0:1], v[88:89]
	v_fma_f64 v[2:3], v[22:23], 2.0, -v[6:7]
	v_add_f64 v[98:99], v[32:33], v[6:7]
	v_fma_f64 v[22:23], v[24:25], 2.0, -v[52:53]
	v_fma_f64 v[6:7], v[36:37], 2.0, -v[56:57]
	;; [unrolled: 1-line block ×3, first 2 shown]
	v_fma_f64 v[10:11], v[94:95], s[0:1], v[96:97]
	v_fma_f64 v[36:37], v[92:93], s[4:5], v[100:101]
	;; [unrolled: 1-line block ×3, first 2 shown]
	v_fma_f64 v[18:19], v[18:19], 2.0, -v[50:51]
	v_fma_f64 v[12:13], v[12:13], 2.0, -v[44:45]
	;; [unrolled: 1-line block ×5, first 2 shown]
	v_fma_f64 v[50:51], v[90:91], s[0:1], v[10:11]
	v_fma_f64 v[14:15], v[14:15], 2.0, -v[46:47]
	v_fma_f64 v[10:11], v[56:57], s[6:7], v[36:37]
	v_add_f64 v[100:101], v[24:25], -v[18:19]
	v_fma_f64 v[34:35], v[34:35], 2.0, -v[86:87]
	v_add_f64 v[18:19], v[12:13], -v[28:29]
	v_fma_f64 v[42:43], v[42:43], 2.0, -v[88:89]
	;; [unrolled: 2-line block ×3, first 2 shown]
	v_fma_f64 v[46:47], v[46:47], 2.0, -v[90:91]
	v_fma_f64 v[48:49], v[92:93], s[0:1], v[98:99]
	v_fma_f64 v[30:31], v[30:31], 2.0, -v[62:63]
	v_add_f64 v[60:61], v[104:105], -v[2:3]
	v_add_f64 v[62:63], v[22:23], -v[6:7]
	v_fma_f64 v[2:3], v[50:51], s[10:11], v[10:11]
	v_fma_f64 v[10:11], v[26:27], 2.0, -v[54:55]
	v_fma_f64 v[26:27], v[38:39], 2.0, -v[58:59]
	;; [unrolled: 1-line block ×4, first 2 shown]
	v_fma_f64 v[20:21], v[16:17], s[4:5], v[34:35]
	v_fma_f64 v[38:39], v[52:53], 2.0, -v[92:93]
	v_fma_f64 v[52:53], v[46:47], s[4:5], v[42:43]
	v_fma_f64 v[44:45], v[44:45], 2.0, -v[94:95]
	v_fma_f64 v[40:41], v[40:41], 2.0, -v[96:97]
	;; [unrolled: 1-line block ×3, first 2 shown]
	v_fma_f64 v[102:103], v[84:85], s[0:1], v[48:49]
	v_add_f64 v[48:49], v[60:61], -v[62:63]
	v_add_f64 v[84:85], v[100:101], -v[18:19]
	;; [unrolled: 1-line block ×3, first 2 shown]
	v_fma_f64 v[20:21], v[38:39], s[4:5], v[20:21]
	v_fma_f64 v[52:53], v[44:45], s[4:5], v[52:53]
	;; [unrolled: 1-line block ×4, first 2 shown]
	v_add_f64 v[26:27], v[10:11], -v[26:27]
	v_add_f64 v[4:5], v[0:1], -v[4:5]
	v_fma_f64 v[54:55], v[84:85], s[0:1], v[48:49]
	v_add_f64 v[58:59], v[28:29], v[30:31]
	v_fma_f64 v[94:95], v[8:9], 2.0, -v[28:29]
	v_fma_f64 v[8:9], v[12:13], 2.0, -v[18:19]
	v_fma_f64 v[12:13], v[52:53], s[14:15], v[20:21]
	v_fma_f64 v[44:45], v[46:47], s[0:1], v[44:45]
	;; [unrolled: 1-line block ×3, first 2 shown]
	v_fma_f64 v[90:91], v[104:105], 2.0, -v[60:61]
	v_add_f64 v[104:105], v[4:5], v[26:27]
	v_fma_f64 v[92:93], v[10:11], 2.0, -v[26:27]
	v_fma_f64 v[10:11], v[58:59], s[4:5], v[54:55]
	v_add_f64 v[46:47], v[94:95], -v[8:9]
	v_fma_f64 v[54:55], v[0:1], 2.0, -v[4:5]
	v_fma_f64 v[0:1], v[22:23], 2.0, -v[62:63]
	;; [unrolled: 1-line block ×4, first 2 shown]
	v_fma_f64 v[14:15], v[44:45], s[16:17], v[12:13]
	v_fma_f64 v[12:13], v[44:45], s[14:15], v[108:109]
	v_fma_f64 v[106:107], v[50:51], s[6:7], v[102:103]
	v_fma_f64 v[16:17], v[58:59], s[0:1], v[104:105]
	v_add_f64 v[38:39], v[90:91], -v[92:93]
	v_add_f64 v[92:93], v[54:55], -v[0:1]
	v_fma_f64 v[40:41], v[40:41], 2.0, -v[44:45]
	v_add_f64 v[62:63], v[24:25], -v[8:9]
	v_fma_f64 v[26:27], v[20:21], 2.0, -v[14:15]
	v_fma_f64 v[12:13], v[52:53], s[6:7], v[12:13]
	v_fma_f64 v[20:21], v[34:35], 2.0, -v[20:21]
	v_fma_f64 v[52:53], v[42:43], 2.0, -v[52:53]
	;; [unrolled: 1-line block ×6, first 2 shown]
	v_fma_f64 v[0:1], v[56:57], s[14:15], v[106:107]
	v_fma_f64 v[22:23], v[48:49], 2.0, -v[10:11]
	v_fma_f64 v[48:49], v[60:61], 2.0, -v[48:49]
	;; [unrolled: 1-line block ×5, first 2 shown]
	v_fma_f64 v[8:9], v[84:85], s[0:1], v[16:17]
	v_fma_f64 v[84:85], v[98:99], 2.0, -v[102:103]
	v_fma_f64 v[60:61], v[90:91], 2.0, -v[38:39]
	;; [unrolled: 1-line block ×5, first 2 shown]
	v_fma_f64 v[42:43], v[52:53], s[16:17], v[20:21]
	v_fma_f64 v[50:51], v[40:41], s[16:17], v[96:97]
	v_fma_f64 v[6:7], v[36:37], 2.0, -v[2:3]
	v_add_f64 v[18:19], v[38:39], -v[46:47]
	v_fma_f64 v[36:37], v[88:89], s[10:11], v[86:87]
	v_fma_f64 v[32:33], v[56:57], s[4:5], v[48:49]
	;; [unrolled: 1-line block ×4, first 2 shown]
	v_add_f64 v[46:47], v[60:61], -v[24:25]
	v_add_f64 v[44:45], v[90:91], -v[44:45]
	v_fma_f64 v[42:43], v[40:41], s[10:11], v[42:43]
	v_fma_f64 v[40:41], v[52:53], s[14:15], v[50:51]
	v_fma_f64 v[30:31], v[38:39], 2.0, -v[18:19]
	v_fma_f64 v[34:35], v[34:35], s[16:17], v[36:37]
	v_fma_f64 v[38:39], v[28:29], s[4:5], v[32:33]
	;; [unrolled: 1-line block ×4, first 2 shown]
	v_add_f64 v[16:17], v[92:93], v[62:63]
	v_fma_f64 v[62:63], v[60:61], 2.0, -v[46:47]
	v_fma_f64 v[60:61], v[90:91], 2.0, -v[44:45]
	;; [unrolled: 1-line block ×12, first 2 shown]
	ds_write_b128 v80, v[60:63]
	ds_write_b128 v67, v[56:59] offset:416
	ds_write_b128 v67, v[52:55] offset:832
	;; [unrolled: 1-line block ×15, first 2 shown]
.LBB0_21:
	s_or_b64 exec, exec, s[2:3]
	s_waitcnt lgkmcnt(0)
	; wave barrier
	s_waitcnt lgkmcnt(0)
	ds_read_b128 v[4:7], v80
	s_add_u32 s2, s8, 0x1930
	s_addc_u32 s3, s9, 0
	v_sub_u32_e32 v10, v81, v79
	v_cmp_ne_u32_e64 s[0:1], 0, v78
                                        ; implicit-def: $vgpr2_vgpr3
                                        ; implicit-def: $vgpr8_vgpr9
	s_and_saveexec_b64 s[4:5], s[0:1]
	s_xor_b64 s[0:1], exec, s[4:5]
	s_cbranch_execz .LBB0_23
; %bb.22:
	global_load_dwordx4 v[11:14], v79, s[2:3]
	ds_read_b128 v[0:3], v10 offset:6656
	s_waitcnt lgkmcnt(0)
	v_add_f64 v[8:9], v[4:5], -v[0:1]
	v_add_f64 v[15:16], v[6:7], v[2:3]
	v_add_f64 v[2:3], v[6:7], -v[2:3]
	v_add_f64 v[0:1], v[4:5], v[0:1]
	v_mul_f64 v[6:7], v[8:9], 0.5
	v_mul_f64 v[4:5], v[15:16], 0.5
	;; [unrolled: 1-line block ×3, first 2 shown]
	s_waitcnt vmcnt(0)
	v_mul_f64 v[8:9], v[6:7], v[13:14]
	v_fma_f64 v[15:16], v[4:5], v[13:14], v[2:3]
	v_fma_f64 v[2:3], v[4:5], v[13:14], -v[2:3]
	v_fma_f64 v[17:18], v[0:1], 0.5, v[8:9]
	v_fma_f64 v[0:1], v[0:1], 0.5, -v[8:9]
	v_fma_f64 v[8:9], -v[11:12], v[6:7], v[15:16]
	v_fma_f64 v[2:3], -v[11:12], v[6:7], v[2:3]
	v_fma_f64 v[13:14], v[4:5], v[11:12], v[17:18]
	v_fma_f64 v[0:1], -v[4:5], v[11:12], v[0:1]
                                        ; implicit-def: $vgpr4_vgpr5
	ds_write_b64 v80, v[13:14]
.LBB0_23:
	s_andn2_saveexec_b64 s[0:1], s[0:1]
	s_cbranch_execz .LBB0_25
; %bb.24:
	s_waitcnt lgkmcnt(0)
	v_add_f64 v[2:3], v[4:5], v[6:7]
	ds_read_b64 v[11:12], v81 offset:3336
	v_add_f64 v[0:1], v[4:5], -v[6:7]
	v_mov_b32_e32 v8, 0
	v_mov_b32_e32 v9, 0
	s_waitcnt lgkmcnt(0)
	v_xor_b32_e32 v12, 0x80000000, v12
	ds_write_b64 v81, v[11:12] offset:3336
	ds_write_b64 v80, v[2:3]
	v_mov_b32_e32 v2, v8
	v_mov_b32_e32 v3, v9
.LBB0_25:
	s_or_b64 exec, exec, s[0:1]
	v_mov_b32_e32 v67, 0
	s_waitcnt lgkmcnt(0)
	v_lshlrev_b64 v[4:5], 4, v[66:67]
	v_mov_b32_e32 v6, s3
	v_add_co_u32_e64 v4, s[0:1], s2, v4
	v_addc_co_u32_e64 v5, s[0:1], v6, v5, s[0:1]
	global_load_dwordx4 v[4:7], v[4:5], off
	v_mov_b32_e32 v72, v67
	v_lshlrev_b64 v[11:12], 4, v[71:72]
	v_mov_b32_e32 v13, s3
	v_add_co_u32_e64 v11, s[0:1], s2, v11
	v_addc_co_u32_e64 v12, s[0:1], v13, v12, s[0:1]
	global_load_dwordx4 v[11:14], v[11:12], off
	ds_write_b64 v80, v[8:9] offset:8
	ds_write_b128 v10, v[0:3] offset:6656
	ds_read_b128 v[0:3], v83
	ds_read_b128 v[15:18], v10 offset:6144
	v_mov_b32_e32 v74, v67
	v_mov_b32_e32 v27, s3
	;; [unrolled: 1-line block ×3, first 2 shown]
	s_waitcnt lgkmcnt(0)
	v_add_f64 v[8:9], v[0:1], -v[15:16]
	v_add_f64 v[19:20], v[2:3], v[17:18]
	v_add_f64 v[2:3], v[2:3], -v[17:18]
	v_add_f64 v[0:1], v[0:1], v[15:16]
	v_lshlrev_b64 v[15:16], 4, v[73:74]
	v_mul_f64 v[17:18], v[8:9], 0.5
	v_mul_f64 v[19:20], v[19:20], 0.5
	;; [unrolled: 1-line block ×3, first 2 shown]
	s_waitcnt vmcnt(1)
	v_mul_f64 v[8:9], v[17:18], v[6:7]
	v_fma_f64 v[21:22], v[19:20], v[6:7], v[2:3]
	v_fma_f64 v[6:7], v[19:20], v[6:7], -v[2:3]
	v_fma_f64 v[23:24], v[0:1], 0.5, v[8:9]
	v_fma_f64 v[25:26], v[0:1], 0.5, -v[8:9]
	v_add_co_u32_e64 v0, s[0:1], s2, v15
	v_addc_co_u32_e64 v1, s[0:1], v27, v16, s[0:1]
	global_load_dwordx4 v[0:3], v[0:1], off
	v_fma_f64 v[8:9], -v[4:5], v[17:18], v[21:22]
	v_fma_f64 v[17:18], -v[4:5], v[17:18], v[6:7]
	v_fma_f64 v[6:7], v[19:20], v[4:5], v[23:24]
	v_fma_f64 v[15:16], -v[19:20], v[4:5], v[25:26]
	ds_write_b128 v83, v[6:9]
	ds_write_b128 v10, v[15:18] offset:6144
	ds_read_b128 v[4:7], v82
	ds_read_b128 v[15:18], v10 offset:5632
	s_waitcnt lgkmcnt(0)
	v_add_f64 v[8:9], v[4:5], -v[15:16]
	v_add_f64 v[19:20], v[6:7], v[17:18]
	v_add_f64 v[6:7], v[6:7], -v[17:18]
	v_add_f64 v[4:5], v[4:5], v[15:16]
	v_mul_f64 v[8:9], v[8:9], 0.5
	v_mul_f64 v[17:18], v[19:20], 0.5
	;; [unrolled: 1-line block ×3, first 2 shown]
	v_lshlrev_b64 v[19:20], 4, v[70:71]
	v_mov_b32_e32 v70, v67
	s_waitcnt vmcnt(1)
	v_mul_f64 v[15:16], v[8:9], v[13:14]
	v_fma_f64 v[21:22], v[17:18], v[13:14], v[6:7]
	v_fma_f64 v[13:14], v[17:18], v[13:14], -v[6:7]
	v_fma_f64 v[23:24], v[4:5], 0.5, v[15:16]
	v_fma_f64 v[25:26], v[4:5], 0.5, -v[15:16]
	v_add_co_u32_e64 v4, s[0:1], s2, v19
	v_addc_co_u32_e64 v5, s[0:1], v27, v20, s[0:1]
	global_load_dwordx4 v[4:7], v[4:5], off
	v_fma_f64 v[15:16], -v[11:12], v[8:9], v[21:22]
	v_fma_f64 v[19:20], -v[11:12], v[8:9], v[13:14]
	v_fma_f64 v[13:14], v[17:18], v[11:12], v[23:24]
	v_fma_f64 v[17:18], -v[17:18], v[11:12], v[25:26]
	ds_write_b128 v82, v[13:16]
	ds_write_b128 v10, v[17:20] offset:5632
	ds_read_b128 v[11:14], v77
	ds_read_b128 v[15:18], v10 offset:5120
	s_waitcnt lgkmcnt(0)
	v_add_f64 v[8:9], v[11:12], -v[15:16]
	v_add_f64 v[19:20], v[13:14], v[17:18]
	v_add_f64 v[13:14], v[13:14], -v[17:18]
	v_add_f64 v[11:12], v[11:12], v[15:16]
	v_lshlrev_b64 v[17:18], 4, v[69:70]
	v_mul_f64 v[8:9], v[8:9], 0.5
	v_mul_f64 v[19:20], v[19:20], 0.5
	;; [unrolled: 1-line block ×3, first 2 shown]
	s_waitcnt vmcnt(1)
	v_mul_f64 v[15:16], v[8:9], v[2:3]
	v_fma_f64 v[21:22], v[19:20], v[2:3], v[13:14]
	v_fma_f64 v[2:3], v[19:20], v[2:3], -v[13:14]
	v_fma_f64 v[23:24], v[11:12], 0.5, v[15:16]
	v_fma_f64 v[25:26], v[11:12], 0.5, -v[15:16]
	v_add_co_u32_e64 v11, s[0:1], s2, v17
	v_addc_co_u32_e64 v12, s[0:1], v27, v18, s[0:1]
	global_load_dwordx4 v[11:14], v[11:12], off
	v_fma_f64 v[17:18], -v[0:1], v[8:9], v[21:22]
	v_fma_f64 v[15:16], v[19:20], v[0:1], v[23:24]
	v_fma_f64 v[2:3], -v[0:1], v[8:9], v[2:3]
	v_fma_f64 v[0:1], -v[19:20], v[0:1], v[25:26]
	s_movk_i32 s0, 0xd0
	ds_write_b128 v77, v[15:18]
	ds_write_b128 v10, v[0:3] offset:5120
	ds_read_b128 v[0:3], v76
	ds_read_b128 v[15:18], v10 offset:4608
	v_cmp_gt_u32_e64 s[0:1], s0, v68
	s_waitcnt lgkmcnt(0)
	v_add_f64 v[8:9], v[0:1], -v[15:16]
	v_add_f64 v[19:20], v[2:3], v[17:18]
	v_add_f64 v[2:3], v[2:3], -v[17:18]
	v_add_f64 v[0:1], v[0:1], v[15:16]
	v_mul_f64 v[8:9], v[8:9], 0.5
	v_mul_f64 v[17:18], v[19:20], 0.5
	;; [unrolled: 1-line block ×3, first 2 shown]
	s_waitcnt vmcnt(1)
	v_mul_f64 v[15:16], v[8:9], v[6:7]
	v_fma_f64 v[19:20], v[17:18], v[6:7], v[2:3]
	v_fma_f64 v[6:7], v[17:18], v[6:7], -v[2:3]
	v_fma_f64 v[21:22], v[0:1], 0.5, v[15:16]
	v_fma_f64 v[15:16], v[0:1], 0.5, -v[15:16]
	v_fma_f64 v[2:3], -v[4:5], v[8:9], v[19:20]
	v_fma_f64 v[6:7], -v[4:5], v[8:9], v[6:7]
	v_fma_f64 v[0:1], v[17:18], v[4:5], v[21:22]
	v_fma_f64 v[4:5], -v[17:18], v[4:5], v[15:16]
	ds_write_b128 v76, v[0:3]
	ds_write_b128 v10, v[4:7] offset:4608
	ds_read_b128 v[0:3], v75
	ds_read_b128 v[4:7], v10 offset:4096
	s_waitcnt lgkmcnt(0)
	v_add_f64 v[8:9], v[0:1], -v[4:5]
	v_add_f64 v[15:16], v[2:3], v[6:7]
	v_add_f64 v[2:3], v[2:3], -v[6:7]
	v_add_f64 v[0:1], v[0:1], v[4:5]
	v_mul_f64 v[6:7], v[8:9], 0.5
	v_mul_f64 v[8:9], v[15:16], 0.5
	;; [unrolled: 1-line block ×3, first 2 shown]
	s_waitcnt vmcnt(0)
	v_mul_f64 v[4:5], v[6:7], v[13:14]
	v_fma_f64 v[15:16], v[8:9], v[13:14], v[2:3]
	v_fma_f64 v[13:14], v[8:9], v[13:14], -v[2:3]
	v_fma_f64 v[17:18], v[0:1], 0.5, v[4:5]
	v_fma_f64 v[4:5], v[0:1], 0.5, -v[4:5]
	v_fma_f64 v[2:3], -v[11:12], v[6:7], v[15:16]
	v_fma_f64 v[6:7], -v[11:12], v[6:7], v[13:14]
	v_fma_f64 v[0:1], v[8:9], v[11:12], v[17:18]
	v_fma_f64 v[4:5], -v[8:9], v[11:12], v[4:5]
	ds_write_b128 v75, v[0:3]
	ds_write_b128 v10, v[4:7] offset:4096
	s_and_saveexec_b64 s[4:5], s[0:1]
	s_cbranch_execz .LBB0_27
; %bb.26:
	v_mov_b32_e32 v69, v67
	v_lshlrev_b64 v[0:1], 4, v[68:69]
	v_mov_b32_e32 v2, s3
	v_add_co_u32_e64 v0, s[0:1], s2, v0
	v_addc_co_u32_e64 v1, s[0:1], v2, v1, s[0:1]
	global_load_dwordx4 v[0:3], v[0:1], off
	v_lshl_add_u32 v17, v68, 4, v81
	ds_read_b128 v[4:7], v17
	ds_read_b128 v[11:14], v10 offset:3584
	s_waitcnt lgkmcnt(0)
	v_add_f64 v[8:9], v[4:5], -v[11:12]
	v_add_f64 v[15:16], v[6:7], v[13:14]
	v_add_f64 v[6:7], v[6:7], -v[13:14]
	v_add_f64 v[4:5], v[4:5], v[11:12]
	v_mul_f64 v[8:9], v[8:9], 0.5
	v_mul_f64 v[13:14], v[15:16], 0.5
	;; [unrolled: 1-line block ×3, first 2 shown]
	s_waitcnt vmcnt(0)
	v_mul_f64 v[11:12], v[8:9], v[2:3]
	v_fma_f64 v[15:16], v[13:14], v[2:3], v[6:7]
	v_fma_f64 v[2:3], v[13:14], v[2:3], -v[6:7]
	v_fma_f64 v[6:7], v[4:5], 0.5, v[11:12]
	v_fma_f64 v[11:12], v[4:5], 0.5, -v[11:12]
	v_fma_f64 v[4:5], -v[0:1], v[8:9], v[15:16]
	v_fma_f64 v[8:9], -v[0:1], v[8:9], v[2:3]
	v_fma_f64 v[2:3], v[13:14], v[0:1], v[6:7]
	v_fma_f64 v[6:7], -v[13:14], v[0:1], v[11:12]
	ds_write_b128 v17, v[2:5]
	ds_write_b128 v10, v[6:9] offset:3584
.LBB0_27:
	s_or_b64 exec, exec, s[4:5]
	s_waitcnt lgkmcnt(0)
	; wave barrier
	s_waitcnt lgkmcnt(0)
	s_and_saveexec_b64 s[0:1], vcc
	s_cbranch_execz .LBB0_30
; %bb.28:
	ds_read_b128 v[2:5], v80
	ds_read_b128 v[6:9], v80 offset:512
	ds_read_b128 v[10:13], v80 offset:1024
	v_mov_b32_e32 v0, s13
	v_add_co_u32_e32 v1, vcc, s12, v64
	v_addc_co_u32_e32 v0, vcc, v0, v65, vcc
	v_add_co_u32_e32 v22, vcc, v1, v79
	v_addc_co_u32_e32 v23, vcc, 0, v0, vcc
	s_waitcnt lgkmcnt(2)
	global_store_dwordx4 v[22:23], v[2:5], off
	s_waitcnt lgkmcnt(1)
	global_store_dwordx4 v[22:23], v[6:9], off offset:512
	s_waitcnt lgkmcnt(0)
	global_store_dwordx4 v[22:23], v[10:13], off offset:1024
	ds_read_b128 v[2:5], v80 offset:1536
	ds_read_b128 v[6:9], v80 offset:2048
	ds_read_b128 v[10:13], v80 offset:2560
	ds_read_b128 v[14:17], v80 offset:3072
	ds_read_b128 v[18:21], v80 offset:3584
	s_waitcnt lgkmcnt(4)
	global_store_dwordx4 v[22:23], v[2:5], off offset:1536
	s_waitcnt lgkmcnt(3)
	global_store_dwordx4 v[22:23], v[6:9], off offset:2048
	;; [unrolled: 2-line block ×5, first 2 shown]
	ds_read_b128 v[2:5], v80 offset:4096
	v_or_b32_e32 v6, 0x1000, v79
	v_add_co_u32_e32 v10, vcc, v1, v6
	ds_read_b128 v[6:9], v80 offset:4608
	v_addc_co_u32_e32 v11, vcc, 0, v0, vcc
	s_waitcnt lgkmcnt(1)
	global_store_dwordx4 v[10:11], v[2:5], off
	s_nop 0
	v_or_b32_e32 v2, 0x1200, v79
	v_add_co_u32_e32 v2, vcc, v1, v2
	v_addc_co_u32_e32 v3, vcc, 0, v0, vcc
	s_waitcnt lgkmcnt(0)
	global_store_dwordx4 v[2:3], v[6:9], off
	ds_read_b128 v[2:5], v80 offset:5120
	v_or_b32_e32 v6, 0x1400, v79
	v_add_co_u32_e32 v10, vcc, v1, v6
	ds_read_b128 v[6:9], v80 offset:5632
	v_addc_co_u32_e32 v11, vcc, 0, v0, vcc
	s_waitcnt lgkmcnt(1)
	global_store_dwordx4 v[10:11], v[2:5], off
	s_nop 0
	v_or_b32_e32 v2, 0x1600, v79
	v_add_co_u32_e32 v2, vcc, v1, v2
	v_addc_co_u32_e32 v3, vcc, 0, v0, vcc
	s_waitcnt lgkmcnt(0)
	global_store_dwordx4 v[2:3], v[6:9], off
	ds_read_b128 v[2:5], v80 offset:6144
	v_or_b32_e32 v6, 0x1800, v79
	v_add_co_u32_e32 v6, vcc, v1, v6
	v_addc_co_u32_e32 v7, vcc, 0, v0, vcc
	v_cmp_eq_u32_e32 vcc, 31, v78
	s_waitcnt lgkmcnt(0)
	global_store_dwordx4 v[6:7], v[2:5], off
	s_and_b64 exec, exec, vcc
	s_cbranch_execz .LBB0_30
; %bb.29:
	ds_read_b128 v[2:5], v80 offset:6160
	v_add_co_u32_e32 v6, vcc, 0x1000, v1
	v_addc_co_u32_e32 v7, vcc, 0, v0, vcc
	s_waitcnt lgkmcnt(0)
	global_store_dwordx4 v[6:7], v[2:5], off offset:2560
.LBB0_30:
	s_endpgm
	.section	.rodata,"a",@progbits
	.p2align	6, 0x0
	.amdhsa_kernel fft_rtc_back_len416_factors_13_2_16_wgs_64_tpt_32_dp_ip_CI_unitstride_sbrr_R2C_dirReg
		.amdhsa_group_segment_fixed_size 0
		.amdhsa_private_segment_fixed_size 0
		.amdhsa_kernarg_size 88
		.amdhsa_user_sgpr_count 6
		.amdhsa_user_sgpr_private_segment_buffer 1
		.amdhsa_user_sgpr_dispatch_ptr 0
		.amdhsa_user_sgpr_queue_ptr 0
		.amdhsa_user_sgpr_kernarg_segment_ptr 1
		.amdhsa_user_sgpr_dispatch_id 0
		.amdhsa_user_sgpr_flat_scratch_init 0
		.amdhsa_user_sgpr_private_segment_size 0
		.amdhsa_uses_dynamic_stack 0
		.amdhsa_system_sgpr_private_segment_wavefront_offset 0
		.amdhsa_system_sgpr_workgroup_id_x 1
		.amdhsa_system_sgpr_workgroup_id_y 0
		.amdhsa_system_sgpr_workgroup_id_z 0
		.amdhsa_system_sgpr_workgroup_info 0
		.amdhsa_system_vgpr_workitem_id 0
		.amdhsa_next_free_vgpr 174
		.amdhsa_next_free_sgpr 42
		.amdhsa_reserve_vcc 1
		.amdhsa_reserve_flat_scratch 0
		.amdhsa_float_round_mode_32 0
		.amdhsa_float_round_mode_16_64 0
		.amdhsa_float_denorm_mode_32 3
		.amdhsa_float_denorm_mode_16_64 3
		.amdhsa_dx10_clamp 1
		.amdhsa_ieee_mode 1
		.amdhsa_fp16_overflow 0
		.amdhsa_exception_fp_ieee_invalid_op 0
		.amdhsa_exception_fp_denorm_src 0
		.amdhsa_exception_fp_ieee_div_zero 0
		.amdhsa_exception_fp_ieee_overflow 0
		.amdhsa_exception_fp_ieee_underflow 0
		.amdhsa_exception_fp_ieee_inexact 0
		.amdhsa_exception_int_div_zero 0
	.end_amdhsa_kernel
	.text
.Lfunc_end0:
	.size	fft_rtc_back_len416_factors_13_2_16_wgs_64_tpt_32_dp_ip_CI_unitstride_sbrr_R2C_dirReg, .Lfunc_end0-fft_rtc_back_len416_factors_13_2_16_wgs_64_tpt_32_dp_ip_CI_unitstride_sbrr_R2C_dirReg
                                        ; -- End function
	.section	.AMDGPU.csdata,"",@progbits
; Kernel info:
; codeLenInByte = 10928
; NumSgprs: 46
; NumVgprs: 174
; ScratchSize: 0
; MemoryBound: 0
; FloatMode: 240
; IeeeMode: 1
; LDSByteSize: 0 bytes/workgroup (compile time only)
; SGPRBlocks: 5
; VGPRBlocks: 43
; NumSGPRsForWavesPerEU: 46
; NumVGPRsForWavesPerEU: 174
; Occupancy: 1
; WaveLimiterHint : 1
; COMPUTE_PGM_RSRC2:SCRATCH_EN: 0
; COMPUTE_PGM_RSRC2:USER_SGPR: 6
; COMPUTE_PGM_RSRC2:TRAP_HANDLER: 0
; COMPUTE_PGM_RSRC2:TGID_X_EN: 1
; COMPUTE_PGM_RSRC2:TGID_Y_EN: 0
; COMPUTE_PGM_RSRC2:TGID_Z_EN: 0
; COMPUTE_PGM_RSRC2:TIDIG_COMP_CNT: 0
	.type	__hip_cuid_8045975d259d0888,@object ; @__hip_cuid_8045975d259d0888
	.section	.bss,"aw",@nobits
	.globl	__hip_cuid_8045975d259d0888
__hip_cuid_8045975d259d0888:
	.byte	0                               ; 0x0
	.size	__hip_cuid_8045975d259d0888, 1

	.ident	"AMD clang version 19.0.0git (https://github.com/RadeonOpenCompute/llvm-project roc-6.4.0 25133 c7fe45cf4b819c5991fe208aaa96edf142730f1d)"
	.section	".note.GNU-stack","",@progbits
	.addrsig
	.addrsig_sym __hip_cuid_8045975d259d0888
	.amdgpu_metadata
---
amdhsa.kernels:
  - .args:
      - .actual_access:  read_only
        .address_space:  global
        .offset:         0
        .size:           8
        .value_kind:     global_buffer
      - .offset:         8
        .size:           8
        .value_kind:     by_value
      - .actual_access:  read_only
        .address_space:  global
        .offset:         16
        .size:           8
        .value_kind:     global_buffer
      - .actual_access:  read_only
        .address_space:  global
        .offset:         24
        .size:           8
        .value_kind:     global_buffer
      - .offset:         32
        .size:           8
        .value_kind:     by_value
      - .actual_access:  read_only
        .address_space:  global
        .offset:         40
        .size:           8
        .value_kind:     global_buffer
      - .actual_access:  read_only
        .address_space:  global
        .offset:         48
        .size:           8
        .value_kind:     global_buffer
      - .offset:         56
        .size:           4
        .value_kind:     by_value
      - .actual_access:  read_only
        .address_space:  global
        .offset:         64
        .size:           8
        .value_kind:     global_buffer
      - .actual_access:  read_only
        .address_space:  global
        .offset:         72
        .size:           8
        .value_kind:     global_buffer
      - .address_space:  global
        .offset:         80
        .size:           8
        .value_kind:     global_buffer
    .group_segment_fixed_size: 0
    .kernarg_segment_align: 8
    .kernarg_segment_size: 88
    .language:       OpenCL C
    .language_version:
      - 2
      - 0
    .max_flat_workgroup_size: 64
    .name:           fft_rtc_back_len416_factors_13_2_16_wgs_64_tpt_32_dp_ip_CI_unitstride_sbrr_R2C_dirReg
    .private_segment_fixed_size: 0
    .sgpr_count:     46
    .sgpr_spill_count: 0
    .symbol:         fft_rtc_back_len416_factors_13_2_16_wgs_64_tpt_32_dp_ip_CI_unitstride_sbrr_R2C_dirReg.kd
    .uniform_work_group_size: 1
    .uses_dynamic_stack: false
    .vgpr_count:     174
    .vgpr_spill_count: 0
    .wavefront_size: 64
amdhsa.target:   amdgcn-amd-amdhsa--gfx906
amdhsa.version:
  - 1
  - 2
...

	.end_amdgpu_metadata
